;; amdgpu-corpus repo=ROCm/rocFFT kind=compiled arch=gfx1201 opt=O3
	.text
	.amdgcn_target "amdgcn-amd-amdhsa--gfx1201"
	.amdhsa_code_object_version 6
	.protected	fft_rtc_fwd_len1100_factors_2_2_11_5_5_wgs_110_tpt_110_dp_ip_CI_unitstride_sbrr_R2C_dirReg ; -- Begin function fft_rtc_fwd_len1100_factors_2_2_11_5_5_wgs_110_tpt_110_dp_ip_CI_unitstride_sbrr_R2C_dirReg
	.globl	fft_rtc_fwd_len1100_factors_2_2_11_5_5_wgs_110_tpt_110_dp_ip_CI_unitstride_sbrr_R2C_dirReg
	.p2align	8
	.type	fft_rtc_fwd_len1100_factors_2_2_11_5_5_wgs_110_tpt_110_dp_ip_CI_unitstride_sbrr_R2C_dirReg,@function
fft_rtc_fwd_len1100_factors_2_2_11_5_5_wgs_110_tpt_110_dp_ip_CI_unitstride_sbrr_R2C_dirReg: ; @fft_rtc_fwd_len1100_factors_2_2_11_5_5_wgs_110_tpt_110_dp_ip_CI_unitstride_sbrr_R2C_dirReg
; %bb.0:
	s_clause 0x2
	s_load_b128 s[4:7], s[0:1], 0x0
	s_load_b64 s[8:9], s[0:1], 0x50
	s_load_b64 s[10:11], s[0:1], 0x18
	v_mul_u32_u24_e32 v1, 0x254, v0
	v_mov_b32_e32 v3, 0
	s_delay_alu instid0(VALU_DEP_2) | instskip(NEXT) | instid1(VALU_DEP_1)
	v_lshrrev_b32_e32 v1, 16, v1
	v_add_nc_u32_e32 v5, ttmp9, v1
	v_mov_b32_e32 v1, 0
	v_mov_b32_e32 v2, 0
	;; [unrolled: 1-line block ×3, first 2 shown]
	s_wait_kmcnt 0x0
	v_cmp_lt_u64_e64 s2, s[6:7], 2
	s_delay_alu instid0(VALU_DEP_1)
	s_and_b32 vcc_lo, exec_lo, s2
	s_cbranch_vccnz .LBB0_8
; %bb.1:
	s_load_b64 s[2:3], s[0:1], 0x10
	v_mov_b32_e32 v1, 0
	v_mov_b32_e32 v2, 0
	s_add_nc_u64 s[12:13], s[10:11], 8
	s_mov_b64 s[14:15], 1
	s_wait_kmcnt 0x0
	s_add_nc_u64 s[16:17], s[2:3], 8
	s_mov_b32 s3, 0
.LBB0_2:                                ; =>This Inner Loop Header: Depth=1
	s_load_b64 s[18:19], s[16:17], 0x0
                                        ; implicit-def: $vgpr7_vgpr8
	s_mov_b32 s2, exec_lo
	s_wait_kmcnt 0x0
	v_or_b32_e32 v4, s19, v6
	s_delay_alu instid0(VALU_DEP_1)
	v_cmpx_ne_u64_e32 0, v[3:4]
	s_wait_alu 0xfffe
	s_xor_b32 s20, exec_lo, s2
	s_cbranch_execz .LBB0_4
; %bb.3:                                ;   in Loop: Header=BB0_2 Depth=1
	s_cvt_f32_u32 s2, s18
	s_cvt_f32_u32 s21, s19
	s_sub_nc_u64 s[24:25], 0, s[18:19]
	s_wait_alu 0xfffe
	s_delay_alu instid0(SALU_CYCLE_1) | instskip(SKIP_1) | instid1(SALU_CYCLE_2)
	s_fmamk_f32 s2, s21, 0x4f800000, s2
	s_wait_alu 0xfffe
	v_s_rcp_f32 s2, s2
	s_delay_alu instid0(TRANS32_DEP_1) | instskip(SKIP_1) | instid1(SALU_CYCLE_2)
	s_mul_f32 s2, s2, 0x5f7ffffc
	s_wait_alu 0xfffe
	s_mul_f32 s21, s2, 0x2f800000
	s_wait_alu 0xfffe
	s_delay_alu instid0(SALU_CYCLE_2) | instskip(SKIP_1) | instid1(SALU_CYCLE_2)
	s_trunc_f32 s21, s21
	s_wait_alu 0xfffe
	s_fmamk_f32 s2, s21, 0xcf800000, s2
	s_cvt_u32_f32 s23, s21
	s_wait_alu 0xfffe
	s_delay_alu instid0(SALU_CYCLE_1) | instskip(SKIP_1) | instid1(SALU_CYCLE_2)
	s_cvt_u32_f32 s22, s2
	s_wait_alu 0xfffe
	s_mul_u64 s[26:27], s[24:25], s[22:23]
	s_wait_alu 0xfffe
	s_mul_hi_u32 s29, s22, s27
	s_mul_i32 s28, s22, s27
	s_mul_hi_u32 s2, s22, s26
	s_mul_i32 s30, s23, s26
	s_wait_alu 0xfffe
	s_add_nc_u64 s[28:29], s[2:3], s[28:29]
	s_mul_hi_u32 s21, s23, s26
	s_mul_hi_u32 s31, s23, s27
	s_add_co_u32 s2, s28, s30
	s_wait_alu 0xfffe
	s_add_co_ci_u32 s2, s29, s21
	s_mul_i32 s26, s23, s27
	s_add_co_ci_u32 s27, s31, 0
	s_wait_alu 0xfffe
	s_add_nc_u64 s[26:27], s[2:3], s[26:27]
	s_wait_alu 0xfffe
	v_add_co_u32 v4, s2, s22, s26
	s_delay_alu instid0(VALU_DEP_1) | instskip(SKIP_1) | instid1(VALU_DEP_1)
	s_cmp_lg_u32 s2, 0
	s_add_co_ci_u32 s23, s23, s27
	v_readfirstlane_b32 s22, v4
	s_wait_alu 0xfffe
	s_delay_alu instid0(VALU_DEP_1)
	s_mul_u64 s[24:25], s[24:25], s[22:23]
	s_wait_alu 0xfffe
	s_mul_hi_u32 s27, s22, s25
	s_mul_i32 s26, s22, s25
	s_mul_hi_u32 s2, s22, s24
	s_mul_i32 s28, s23, s24
	s_wait_alu 0xfffe
	s_add_nc_u64 s[26:27], s[2:3], s[26:27]
	s_mul_hi_u32 s21, s23, s24
	s_mul_hi_u32 s22, s23, s25
	s_wait_alu 0xfffe
	s_add_co_u32 s2, s26, s28
	s_add_co_ci_u32 s2, s27, s21
	s_mul_i32 s24, s23, s25
	s_add_co_ci_u32 s25, s22, 0
	s_wait_alu 0xfffe
	s_add_nc_u64 s[24:25], s[2:3], s[24:25]
	s_wait_alu 0xfffe
	v_add_co_u32 v4, s2, v4, s24
	s_delay_alu instid0(VALU_DEP_1) | instskip(SKIP_1) | instid1(VALU_DEP_1)
	s_cmp_lg_u32 s2, 0
	s_add_co_ci_u32 s2, s23, s25
	v_mul_hi_u32 v13, v5, v4
	s_wait_alu 0xfffe
	v_mad_co_u64_u32 v[7:8], null, v5, s2, 0
	v_mad_co_u64_u32 v[9:10], null, v6, v4, 0
	;; [unrolled: 1-line block ×3, first 2 shown]
	s_delay_alu instid0(VALU_DEP_3) | instskip(SKIP_1) | instid1(VALU_DEP_4)
	v_add_co_u32 v4, vcc_lo, v13, v7
	s_wait_alu 0xfffd
	v_add_co_ci_u32_e32 v7, vcc_lo, 0, v8, vcc_lo
	s_delay_alu instid0(VALU_DEP_2) | instskip(SKIP_1) | instid1(VALU_DEP_2)
	v_add_co_u32 v4, vcc_lo, v4, v9
	s_wait_alu 0xfffd
	v_add_co_ci_u32_e32 v4, vcc_lo, v7, v10, vcc_lo
	s_wait_alu 0xfffd
	v_add_co_ci_u32_e32 v7, vcc_lo, 0, v12, vcc_lo
	s_delay_alu instid0(VALU_DEP_2) | instskip(SKIP_1) | instid1(VALU_DEP_2)
	v_add_co_u32 v4, vcc_lo, v4, v11
	s_wait_alu 0xfffd
	v_add_co_ci_u32_e32 v9, vcc_lo, 0, v7, vcc_lo
	s_delay_alu instid0(VALU_DEP_2) | instskip(SKIP_1) | instid1(VALU_DEP_3)
	v_mul_lo_u32 v10, s19, v4
	v_mad_co_u64_u32 v[7:8], null, s18, v4, 0
	v_mul_lo_u32 v11, s18, v9
	s_delay_alu instid0(VALU_DEP_2) | instskip(NEXT) | instid1(VALU_DEP_2)
	v_sub_co_u32 v7, vcc_lo, v5, v7
	v_add3_u32 v8, v8, v11, v10
	s_delay_alu instid0(VALU_DEP_1) | instskip(SKIP_1) | instid1(VALU_DEP_1)
	v_sub_nc_u32_e32 v10, v6, v8
	s_wait_alu 0xfffd
	v_subrev_co_ci_u32_e64 v10, s2, s19, v10, vcc_lo
	v_add_co_u32 v11, s2, v4, 2
	s_wait_alu 0xf1ff
	v_add_co_ci_u32_e64 v12, s2, 0, v9, s2
	v_sub_co_u32 v13, s2, v7, s18
	v_sub_co_ci_u32_e32 v8, vcc_lo, v6, v8, vcc_lo
	s_wait_alu 0xf1ff
	v_subrev_co_ci_u32_e64 v10, s2, 0, v10, s2
	s_delay_alu instid0(VALU_DEP_3) | instskip(NEXT) | instid1(VALU_DEP_3)
	v_cmp_le_u32_e32 vcc_lo, s18, v13
	v_cmp_eq_u32_e64 s2, s19, v8
	s_wait_alu 0xfffd
	v_cndmask_b32_e64 v13, 0, -1, vcc_lo
	v_cmp_le_u32_e32 vcc_lo, s19, v10
	s_wait_alu 0xfffd
	v_cndmask_b32_e64 v14, 0, -1, vcc_lo
	v_cmp_le_u32_e32 vcc_lo, s18, v7
	;; [unrolled: 3-line block ×3, first 2 shown]
	s_wait_alu 0xfffd
	v_cndmask_b32_e64 v15, 0, -1, vcc_lo
	v_cmp_eq_u32_e32 vcc_lo, s19, v10
	s_wait_alu 0xf1ff
	s_delay_alu instid0(VALU_DEP_2)
	v_cndmask_b32_e64 v7, v15, v7, s2
	s_wait_alu 0xfffd
	v_cndmask_b32_e32 v10, v14, v13, vcc_lo
	v_add_co_u32 v13, vcc_lo, v4, 1
	s_wait_alu 0xfffd
	v_add_co_ci_u32_e32 v14, vcc_lo, 0, v9, vcc_lo
	s_delay_alu instid0(VALU_DEP_3) | instskip(SKIP_2) | instid1(VALU_DEP_3)
	v_cmp_ne_u32_e32 vcc_lo, 0, v10
	s_wait_alu 0xfffd
	v_cndmask_b32_e32 v10, v13, v11, vcc_lo
	v_cndmask_b32_e32 v8, v14, v12, vcc_lo
	v_cmp_ne_u32_e32 vcc_lo, 0, v7
	s_wait_alu 0xfffd
	s_delay_alu instid0(VALU_DEP_2)
	v_dual_cndmask_b32 v7, v4, v10 :: v_dual_cndmask_b32 v8, v9, v8
.LBB0_4:                                ;   in Loop: Header=BB0_2 Depth=1
	s_wait_alu 0xfffe
	s_and_not1_saveexec_b32 s2, s20
	s_cbranch_execz .LBB0_6
; %bb.5:                                ;   in Loop: Header=BB0_2 Depth=1
	v_cvt_f32_u32_e32 v4, s18
	s_sub_co_i32 s20, 0, s18
	s_delay_alu instid0(VALU_DEP_1) | instskip(NEXT) | instid1(TRANS32_DEP_1)
	v_rcp_iflag_f32_e32 v4, v4
	v_mul_f32_e32 v4, 0x4f7ffffe, v4
	s_delay_alu instid0(VALU_DEP_1) | instskip(SKIP_1) | instid1(VALU_DEP_1)
	v_cvt_u32_f32_e32 v4, v4
	s_wait_alu 0xfffe
	v_mul_lo_u32 v7, s20, v4
	s_delay_alu instid0(VALU_DEP_1) | instskip(NEXT) | instid1(VALU_DEP_1)
	v_mul_hi_u32 v7, v4, v7
	v_add_nc_u32_e32 v4, v4, v7
	s_delay_alu instid0(VALU_DEP_1) | instskip(NEXT) | instid1(VALU_DEP_1)
	v_mul_hi_u32 v4, v5, v4
	v_mul_lo_u32 v7, v4, s18
	v_add_nc_u32_e32 v8, 1, v4
	s_delay_alu instid0(VALU_DEP_2) | instskip(NEXT) | instid1(VALU_DEP_1)
	v_sub_nc_u32_e32 v7, v5, v7
	v_subrev_nc_u32_e32 v9, s18, v7
	v_cmp_le_u32_e32 vcc_lo, s18, v7
	s_wait_alu 0xfffd
	s_delay_alu instid0(VALU_DEP_2) | instskip(NEXT) | instid1(VALU_DEP_1)
	v_dual_cndmask_b32 v7, v7, v9 :: v_dual_cndmask_b32 v4, v4, v8
	v_cmp_le_u32_e32 vcc_lo, s18, v7
	s_delay_alu instid0(VALU_DEP_2) | instskip(SKIP_1) | instid1(VALU_DEP_1)
	v_add_nc_u32_e32 v8, 1, v4
	s_wait_alu 0xfffd
	v_dual_cndmask_b32 v7, v4, v8 :: v_dual_mov_b32 v8, v3
.LBB0_6:                                ;   in Loop: Header=BB0_2 Depth=1
	s_wait_alu 0xfffe
	s_or_b32 exec_lo, exec_lo, s2
	s_load_b64 s[20:21], s[12:13], 0x0
	s_delay_alu instid0(VALU_DEP_1)
	v_mul_lo_u32 v4, v8, s18
	v_mul_lo_u32 v11, v7, s19
	v_mad_co_u64_u32 v[9:10], null, v7, s18, 0
	s_add_nc_u64 s[14:15], s[14:15], 1
	s_add_nc_u64 s[12:13], s[12:13], 8
	s_wait_alu 0xfffe
	v_cmp_ge_u64_e64 s2, s[14:15], s[6:7]
	s_add_nc_u64 s[16:17], s[16:17], 8
	s_delay_alu instid0(VALU_DEP_2) | instskip(NEXT) | instid1(VALU_DEP_3)
	v_add3_u32 v4, v10, v11, v4
	v_sub_co_u32 v5, vcc_lo, v5, v9
	s_wait_alu 0xfffd
	s_delay_alu instid0(VALU_DEP_2) | instskip(SKIP_3) | instid1(VALU_DEP_2)
	v_sub_co_ci_u32_e32 v4, vcc_lo, v6, v4, vcc_lo
	s_and_b32 vcc_lo, exec_lo, s2
	s_wait_kmcnt 0x0
	v_mul_lo_u32 v6, s21, v5
	v_mul_lo_u32 v4, s20, v4
	v_mad_co_u64_u32 v[1:2], null, s20, v5, v[1:2]
	s_delay_alu instid0(VALU_DEP_1)
	v_add3_u32 v2, v6, v2, v4
	s_wait_alu 0xfffe
	s_cbranch_vccnz .LBB0_9
; %bb.7:                                ;   in Loop: Header=BB0_2 Depth=1
	v_dual_mov_b32 v5, v7 :: v_dual_mov_b32 v6, v8
	s_branch .LBB0_2
.LBB0_8:
	v_dual_mov_b32 v8, v6 :: v_dual_mov_b32 v7, v5
.LBB0_9:
	s_lshl_b64 s[2:3], s[6:7], 3
	v_mul_hi_u32 v3, 0x253c826, v0
	s_wait_alu 0xfffe
	s_add_nc_u64 s[2:3], s[10:11], s[2:3]
	s_load_b64 s[0:1], s[0:1], 0x20
	s_load_b64 s[2:3], s[2:3], 0x0
	s_delay_alu instid0(VALU_DEP_1) | instskip(NEXT) | instid1(VALU_DEP_1)
	v_mul_u32_u24_e32 v3, 0x6e, v3
	v_sub_nc_u32_e32 v80, v0, v3
	s_delay_alu instid0(VALU_DEP_1)
	v_add_nc_u32_e32 v82, 0x6e, v80
	v_add_nc_u32_e32 v88, 0xdc, v80
	;; [unrolled: 1-line block ×4, first 2 shown]
	s_wait_kmcnt 0x0
	v_cmp_gt_u64_e32 vcc_lo, s[0:1], v[7:8]
	v_mul_lo_u32 v3, s2, v8
	v_mul_lo_u32 v4, s3, v7
	v_mad_co_u64_u32 v[0:1], null, s2, v7, v[1:2]
	v_cmp_le_u64_e64 s0, s[0:1], v[7:8]
	s_delay_alu instid0(VALU_DEP_2) | instskip(NEXT) | instid1(VALU_DEP_2)
	v_add3_u32 v1, v4, v1, v3
	s_and_saveexec_b32 s1, s0
	s_wait_alu 0xfffe
	s_xor_b32 s0, exec_lo, s1
; %bb.10:
	v_add_nc_u32_e32 v82, 0x6e, v80
	v_add_nc_u32_e32 v88, 0xdc, v80
	;; [unrolled: 1-line block ×4, first 2 shown]
; %bb.11:
	s_wait_alu 0xfffe
	s_or_saveexec_b32 s1, s0
	v_lshlrev_b64_e32 v[84:85], 4, v[0:1]
	s_wait_alu 0xfffe
	s_xor_b32 exec_lo, exec_lo, s1
	s_cbranch_execz .LBB0_13
; %bb.12:
	v_mov_b32_e32 v81, 0
	s_delay_alu instid0(VALU_DEP_2) | instskip(SKIP_2) | instid1(VALU_DEP_3)
	v_add_co_u32 v2, s0, s8, v84
	s_wait_alu 0xf1ff
	v_add_co_ci_u32_e64 v3, s0, s9, v85, s0
	v_lshlrev_b64_e32 v[0:1], 4, v[80:81]
	v_lshl_add_u32 v40, v80, 4, 0
	s_delay_alu instid0(VALU_DEP_2) | instskip(SKIP_1) | instid1(VALU_DEP_3)
	v_add_co_u32 v36, s0, v2, v0
	s_wait_alu 0xf1ff
	v_add_co_ci_u32_e64 v37, s0, v3, v1, s0
	s_clause 0x9
	global_load_b128 v[0:3], v[36:37], off
	global_load_b128 v[4:7], v[36:37], off offset:1760
	global_load_b128 v[8:11], v[36:37], off offset:3520
	;; [unrolled: 1-line block ×9, first 2 shown]
	s_wait_loadcnt 0x9
	ds_store_b128 v40, v[0:3]
	s_wait_loadcnt 0x8
	ds_store_b128 v40, v[4:7] offset:1760
	s_wait_loadcnt 0x7
	ds_store_b128 v40, v[8:11] offset:3520
	;; [unrolled: 2-line block ×9, first 2 shown]
.LBB0_13:
	s_or_b32 exec_lo, exec_lo, s1
	v_lshlrev_b32_e32 v81, 4, v80
	global_wb scope:SCOPE_SE
	s_wait_dscnt 0x0
	s_barrier_signal -1
	s_barrier_wait -1
	global_inv scope:SCOPE_SE
	v_add_nc_u32_e32 v90, 0, v81
	v_and_b32_e32 v51, 1, v80
	v_lshl_add_u32 v89, v82, 5, 0
	v_lshl_add_u32 v92, v88, 5, 0
	;; [unrolled: 1-line block ×3, first 2 shown]
	ds_load_b128 v[0:3], v90 offset:8800
	ds_load_b128 v[4:7], v90
	ds_load_b128 v[8:11], v90 offset:1760
	ds_load_b128 v[12:15], v90 offset:10560
	;; [unrolled: 1-line block ×8, first 2 shown]
	v_lshlrev_b32_e32 v40, 4, v51
	v_add_nc_u32_e32 v41, v90, v81
	v_lshl_add_u32 v93, v86, 5, 0
	global_wb scope:SCOPE_SE
	s_wait_dscnt 0x0
	s_barrier_signal -1
	s_barrier_wait -1
	global_inv scope:SCOPE_SE
	v_lshlrev_b32_e32 v44, 4, v82
	v_lshlrev_b32_e32 v45, 4, v88
	;; [unrolled: 1-line block ×4, first 2 shown]
	v_add_f64_e64 v[0:1], v[4:5], -v[0:1]
	v_add_f64_e64 v[2:3], v[6:7], -v[2:3]
	;; [unrolled: 1-line block ×10, first 2 shown]
	v_cmp_gt_u32_e64 s0, 0x64, v80
	v_fma_f64 v[4:5], v[4:5], 2.0, -v[0:1]
	v_fma_f64 v[6:7], v[6:7], 2.0, -v[2:3]
	;; [unrolled: 1-line block ×10, first 2 shown]
	ds_store_b128 v41, v[4:7]
	ds_store_b128 v41, v[0:3] offset:16
	ds_store_b128 v89, v[8:11]
	ds_store_b128 v89, v[12:15] offset:16
	;; [unrolled: 2-line block ×5, first 2 shown]
	global_wb scope:SCOPE_SE
	s_wait_dscnt 0x0
	s_barrier_signal -1
	s_barrier_wait -1
	global_inv scope:SCOPE_SE
	global_load_b128 v[0:3], v40, s[4:5]
	ds_load_b128 v[4:7], v90 offset:8800
	ds_load_b128 v[8:11], v90 offset:10560
	;; [unrolled: 1-line block ×5, first 2 shown]
	s_wait_loadcnt_dscnt 0x4
	v_mul_f64_e32 v[24:25], v[6:7], v[2:3]
	v_mul_f64_e32 v[26:27], v[4:5], v[2:3]
	s_wait_dscnt 0x3
	v_mul_f64_e32 v[28:29], v[10:11], v[2:3]
	v_mul_f64_e32 v[30:31], v[8:9], v[2:3]
	s_wait_dscnt 0x2
	;; [unrolled: 3-line block ×4, first 2 shown]
	v_mul_f64_e32 v[40:41], v[22:23], v[2:3]
	v_mul_f64_e32 v[2:3], v[20:21], v[2:3]
	v_fma_f64 v[4:5], v[4:5], v[0:1], -v[24:25]
	v_fma_f64 v[6:7], v[6:7], v[0:1], v[26:27]
	v_fma_f64 v[8:9], v[8:9], v[0:1], -v[28:29]
	v_fma_f64 v[10:11], v[10:11], v[0:1], v[30:31]
	;; [unrolled: 2-line block ×5, first 2 shown]
	v_sub_nc_u32_e32 v12, v89, v44
	v_sub_nc_u32_e32 v16, v92, v45
	;; [unrolled: 1-line block ×4, first 2 shown]
	ds_load_b128 v[0:3], v90
	ds_load_b128 v[12:15], v12
	;; [unrolled: 1-line block ×5, first 2 shown]
	global_wb scope:SCOPE_SE
	s_wait_dscnt 0x0
	s_barrier_signal -1
	s_barrier_wait -1
	global_inv scope:SCOPE_SE
	v_add_f64_e64 v[40:41], v[0:1], -v[4:5]
	v_add_f64_e64 v[42:43], v[2:3], -v[6:7]
	;; [unrolled: 1-line block ×10, first 2 shown]
	v_lshlrev_b32_e32 v36, 1, v80
	v_lshlrev_b32_e32 v37, 1, v82
	;; [unrolled: 1-line block ×5, first 2 shown]
	v_and_or_b32 v36, 0xfc, v36, v51
	v_and_or_b32 v37, 0x1fc, v37, v51
	;; [unrolled: 1-line block ×5, first 2 shown]
	v_lshl_add_u32 v36, v36, 4, 0
	v_lshl_add_u32 v37, v37, 4, 0
	;; [unrolled: 1-line block ×5, first 2 shown]
	v_fma_f64 v[0:1], v[0:1], 2.0, -v[40:41]
	v_fma_f64 v[2:3], v[2:3], 2.0, -v[42:43]
	;; [unrolled: 1-line block ×10, first 2 shown]
	ds_store_b128 v36, v[0:3]
	ds_store_b128 v36, v[40:43] offset:32
	ds_store_b128 v37, v[12:15]
	ds_store_b128 v37, v[4:7] offset:32
	;; [unrolled: 2-line block ×5, first 2 shown]
	global_wb scope:SCOPE_SE
	s_wait_dscnt 0x0
	s_barrier_signal -1
	s_barrier_wait -1
	global_inv scope:SCOPE_SE
                                        ; implicit-def: $vgpr38_vgpr39
	s_and_saveexec_b32 s1, s0
	s_cbranch_execz .LBB0_15
; %bb.14:
	ds_load_b128 v[0:3], v90
	ds_load_b128 v[40:43], v90 offset:1600
	ds_load_b128 v[12:15], v90 offset:3200
	;; [unrolled: 1-line block ×10, first 2 shown]
.LBB0_15:
	s_wait_alu 0xfffe
	s_or_b32 exec_lo, exec_lo, s1
	v_sub_nc_u32_e32 v94, 0, v44
	v_sub_nc_u32_e32 v95, 0, v45
	;; [unrolled: 1-line block ×3, first 2 shown]
	global_wb scope:SCOPE_SE
	s_wait_dscnt 0x0
	s_barrier_signal -1
	s_barrier_wait -1
	global_inv scope:SCOPE_SE
	s_and_saveexec_b32 s33, s0
	s_cbranch_execz .LBB0_17
; %bb.16:
	v_and_b32_e32 v97, 3, v80
	s_mov_b32 s0, 0x640f44db
	s_mov_b32 s2, 0xd9c712b6
	s_mov_b32 s26, 0x8eee2c13
	s_mov_b32 s6, 0x7f775887
	v_mul_u32_u24_e32 v44, 10, v97
	s_mov_b32 s14, 0xbb3a28a1
	s_mov_b32 s12, 0x9bcd5057
	;; [unrolled: 1-line block ×4, first 2 shown]
	v_lshlrev_b32_e32 v72, 4, v44
	s_mov_b32 s22, 0x43842ef
	s_mov_b32 s3, 0x3fda9628
	;; [unrolled: 1-line block ×4, first 2 shown]
	s_clause 0x9
	global_load_b128 v[98:101], v72, s[4:5] offset:32
	global_load_b128 v[48:51], v72, s[4:5] offset:176
	;; [unrolled: 1-line block ×10, first 2 shown]
	s_mov_b32 s15, 0x3fe82f19
	s_mov_b32 s13, 0xbfeeb42a
	;; [unrolled: 1-line block ×5, first 2 shown]
	s_wait_alu 0xfffe
	s_mov_b32 s20, s14
	s_mov_b32 s18, s16
	s_mov_b32 s23, 0x3fefac9e
	s_mov_b32 s25, 0xbfefac9e
	s_mov_b32 s24, s22
	s_mov_b32 s10, 0x8764f0ba
	s_mov_b32 s28, 0xf8bb580b
	s_mov_b32 s11, 0x3feaeb8c
	s_mov_b32 s29, 0xbfe14ced
	s_mov_b32 s35, 0x3fed1bb4
	s_mov_b32 s31, 0x3fe14ced
	s_mov_b32 s34, s26
	s_mov_b32 s30, s28
	s_wait_loadcnt 0x9
	v_mul_f64_e32 v[102:103], v[40:41], v[100:101]
	v_mul_f64_e32 v[100:101], v[42:43], v[100:101]
	s_wait_loadcnt 0x8
	v_mul_f64_e32 v[104:105], v[36:37], v[50:51]
	s_wait_loadcnt 0x7
	;; [unrolled: 2-line block ×4, first 2 shown]
	v_mul_f64_e32 v[110:111], v[12:13], v[78:79]
	v_mul_f64_e32 v[78:79], v[14:15], v[78:79]
	;; [unrolled: 1-line block ×4, first 2 shown]
	s_wait_loadcnt 0x2
	v_mul_f64_e32 v[112:113], v[4:5], v[66:67]
	s_wait_loadcnt 0x1
	v_mul_f64_e32 v[114:115], v[32:33], v[58:59]
	v_mul_f64_e32 v[46:47], v[26:27], v[46:47]
	;; [unrolled: 1-line block ×3, first 2 shown]
	s_wait_loadcnt 0x0
	v_mul_f64_e32 v[116:117], v[28:29], v[74:75]
	v_mul_f64_e32 v[58:59], v[34:35], v[58:59]
	;; [unrolled: 1-line block ×3, first 2 shown]
	v_fma_f64 v[42:43], v[42:43], v[98:99], v[102:103]
	v_fma_f64 v[98:99], v[40:41], v[98:99], -v[100:101]
	v_fma_f64 v[38:39], v[38:39], v[48:49], v[104:105]
	v_fma_f64 v[40:41], v[10:11], v[52:53], v[106:107]
	;; [unrolled: 1-line block ×4, first 2 shown]
	v_fma_f64 v[76:77], v[12:13], v[76:77], -v[78:79]
	v_mul_f64_e32 v[100:101], v[16:17], v[62:63]
	v_mul_f64_e32 v[102:103], v[20:21], v[70:71]
	v_mul_f64_e32 v[62:63], v[18:19], v[62:63]
	v_mul_f64_e32 v[70:71], v[22:23], v[70:71]
	v_fma_f64 v[52:53], v[8:9], v[52:53], -v[54:55]
	v_fma_f64 v[8:9], v[36:37], v[48:49], -v[50:51]
	v_fma_f64 v[36:37], v[6:7], v[64:65], v[112:113]
	v_fma_f64 v[12:13], v[34:35], v[56:57], v[114:115]
	v_fma_f64 v[24:25], v[24:25], v[44:45], -v[46:47]
	v_fma_f64 v[34:35], v[4:5], v[64:65], -v[66:67]
	v_fma_f64 v[4:5], v[30:31], v[72:73], v[116:117]
	v_fma_f64 v[14:15], v[32:33], v[56:57], -v[58:59]
	v_fma_f64 v[6:7], v[28:29], v[72:73], -v[74:75]
	v_add_f64_e32 v[78:79], v[2:3], v[42:43]
	v_add_f64_e32 v[104:105], v[0:1], v[98:99]
	;; [unrolled: 1-line block ×3, first 2 shown]
	v_add_f64_e64 v[30:31], v[42:43], -v[38:39]
	v_add_f64_e64 v[72:73], v[40:41], -v[10:11]
	v_add_f64_e32 v[32:33], v[40:41], v[10:11]
	v_fma_f64 v[18:19], v[18:19], v[60:61], v[100:101]
	v_fma_f64 v[22:23], v[22:23], v[68:69], v[102:103]
	v_fma_f64 v[16:17], v[16:17], v[60:61], -v[62:63]
	v_fma_f64 v[20:21], v[20:21], v[68:69], -v[70:71]
	v_add_f64_e64 v[50:51], v[98:99], -v[8:9]
	v_add_f64_e32 v[54:55], v[98:99], v[8:9]
	v_add_f64_e32 v[48:49], v[36:37], v[12:13]
	v_add_f64_e64 v[68:69], v[36:37], -v[12:13]
	v_add_f64_e64 v[56:57], v[52:53], -v[24:25]
	v_add_f64_e32 v[60:61], v[26:27], v[4:5]
	v_add_f64_e64 v[62:63], v[34:35], -v[14:15]
	v_add_f64_e32 v[70:71], v[34:35], v[14:15]
	v_add_f64_e64 v[64:65], v[76:77], -v[6:7]
	v_add_f64_e32 v[66:67], v[76:77], v[6:7]
	v_add_f64_e32 v[74:75], v[52:53], v[24:25]
	v_add_f64_e32 v[42:43], v[78:79], v[26:27]
	;; [unrolled: 1-line block ×3, first 2 shown]
	v_add_f64_e64 v[26:27], v[26:27], -v[4:5]
	v_mul_f64_e32 v[98:99], s[12:13], v[28:29]
	s_wait_alu 0xfffe
	v_mul_f64_e32 v[100:101], s[18:19], v[30:31]
	v_mul_f64_e32 v[102:103], s[6:7], v[28:29]
	;; [unrolled: 1-line block ×9, first 2 shown]
	v_add_f64_e32 v[46:47], v[18:19], v[22:23]
	v_add_f64_e64 v[58:59], v[16:17], -v[20:21]
	v_add_f64_e64 v[76:77], v[18:19], -v[22:23]
	v_add_f64_e32 v[78:79], v[16:17], v[20:21]
	v_mul_f64_e32 v[126:127], s[6:7], v[48:49]
	v_mul_f64_e32 v[128:129], s[10:11], v[48:49]
	;; [unrolled: 1-line block ×21, first 2 shown]
	v_add_f64_e32 v[36:37], v[42:43], v[36:37]
	v_add_f64_e32 v[34:35], v[44:45], v[34:35]
	v_mul_f64_e32 v[142:143], s[30:31], v[26:27]
	v_mul_f64_e32 v[144:145], s[22:23], v[26:27]
	;; [unrolled: 1-line block ×3, first 2 shown]
	v_fma_f64 v[174:175], v[50:51], s[14:15], v[102:103]
	v_fma_f64 v[176:177], v[54:55], s[6:7], v[104:105]
	;; [unrolled: 1-line block ×7, first 2 shown]
	v_fma_f64 v[112:113], v[54:55], s[2:3], -v[112:113]
	v_mul_f64_e32 v[146:147], s[16:17], v[26:27]
	v_fma_f64 v[104:105], v[54:55], s[6:7], -v[104:105]
	v_fma_f64 v[180:181], v[54:55], s[0:1], v[108:109]
	v_fma_f64 v[108:109], v[54:55], s[0:1], -v[108:109]
	v_fma_f64 v[102:103], v[50:51], s[20:21], v[102:103]
	v_mul_f64_e32 v[26:27], s[26:27], v[26:27]
	v_fma_f64 v[186:187], v[50:51], s[30:31], v[28:29]
	v_fma_f64 v[28:29], v[50:51], s[28:29], v[28:29]
	;; [unrolled: 1-line block ×13, first 2 shown]
	v_mul_f64_e32 v[44:45], s[2:3], v[46:47]
	v_mul_f64_e32 v[120:121], s[12:13], v[46:47]
	;; [unrolled: 1-line block ×6, first 2 shown]
	v_add_f64_e32 v[18:19], v[36:37], v[18:19]
	v_add_f64_e32 v[16:17], v[34:35], v[16:17]
	v_mul_f64_e32 v[34:35], s[18:19], v[72:73]
	v_fma_f64 v[36:37], v[50:51], s[16:17], v[98:99]
	v_fma_f64 v[72:73], v[54:55], s[12:13], v[100:101]
	;; [unrolled: 1-line block ×3, first 2 shown]
	v_fma_f64 v[100:101], v[54:55], s[12:13], -v[100:101]
	v_fma_f64 v[50:51], v[54:55], s[10:11], v[30:31]
	v_fma_f64 v[30:31], v[54:55], s[10:11], -v[30:31]
	v_fma_f64 v[54:55], v[62:63], s[14:15], v[126:127]
	v_fma_f64 v[126:127], v[62:63], s[20:21], v[126:127]
	;; [unrolled: 1-line block ×6, first 2 shown]
	v_fma_f64 v[148:149], v[66:67], s[6:7], -v[148:149]
	v_add_f64_e32 v[174:175], v[2:3], v[174:175]
	v_add_f64_e32 v[176:177], v[0:1], v[176:177]
	;; [unrolled: 1-line block ×5, first 2 shown]
	v_fma_f64 v[144:145], v[66:67], s[0:1], -v[144:145]
	v_fma_f64 v[202:203], v[66:67], s[12:13], v[146:147]
	v_fma_f64 v[146:147], v[66:67], s[12:13], -v[146:147]
	v_add_f64_e32 v[104:105], v[0:1], v[104:105]
	v_add_f64_e32 v[108:109], v[0:1], v[108:109]
	;; [unrolled: 1-line block ×7, first 2 shown]
	v_fma_f64 v[206:207], v[66:67], s[2:3], v[26:27]
	v_fma_f64 v[26:27], v[66:67], s[2:3], -v[26:27]
	v_add_f64_e32 v[186:187], v[2:3], v[186:187]
	v_mul_f64_e32 v[164:165], s[22:23], v[76:77]
	v_mul_f64_e32 v[160:161], s[18:19], v[76:77]
	;; [unrolled: 1-line block ×4, first 2 shown]
	v_add_f64_e32 v[18:19], v[18:19], v[40:41]
	v_add_f64_e32 v[16:17], v[16:17], v[52:53]
	v_fma_f64 v[40:41], v[64:65], s[16:17], v[138:139]
	v_fma_f64 v[52:53], v[64:65], s[14:15], v[140:141]
	v_fma_f64 v[138:139], v[64:65], s[20:21], v[140:141]
	v_fma_f64 v[140:141], v[64:65], s[34:35], v[60:61]
	v_fma_f64 v[60:61], v[64:65], s[26:27], v[60:61]
	v_fma_f64 v[64:65], v[66:67], s[10:11], v[142:143]
	v_fma_f64 v[142:143], v[66:67], s[10:11], -v[142:143]
	v_add_f64_e32 v[36:37], v[2:3], v[36:37]
	v_add_f64_e32 v[72:73], v[0:1], v[72:73]
	;; [unrolled: 1-line block ×7, first 2 shown]
	v_fma_f64 v[66:67], v[70:71], s[6:7], v[150:151]
	v_fma_f64 v[30:31], v[70:71], s[2:3], v[154:155]
	v_fma_f64 v[50:51], v[70:71], s[2:3], -v[154:155]
	v_fma_f64 v[154:155], v[70:71], s[12:13], -v[156:157]
	;; [unrolled: 1-line block ×3, first 2 shown]
	v_mul_f64_e32 v[42:43], s[10:11], v[32:33]
	v_fma_f64 v[210:211], v[58:59], s[26:27], v[44:45]
	v_fma_f64 v[44:45], v[58:59], s[34:35], v[44:45]
	v_add_f64_e32 v[104:105], v[144:145], v[104:105]
	v_add_f64_e32 v[108:109], v[146:147], v[108:109]
	;; [unrolled: 1-line block ×3, first 2 shown]
	v_fma_f64 v[212:213], v[58:59], s[16:17], v[120:121]
	v_fma_f64 v[120:121], v[58:59], s[18:19], v[120:121]
	v_mul_f64_e32 v[114:115], s[0:1], v[32:33]
	v_add_f64_e32 v[136:137], v[204:205], v[184:185]
	v_mul_f64_e32 v[32:33], s[12:13], v[32:33]
	v_fma_f64 v[208:209], v[56:57], s[26:27], v[116:117]
	v_fma_f64 v[116:117], v[56:57], s[34:35], v[116:117]
	v_fma_f64 v[146:147], v[78:79], s[10:11], -v[162:163]
	v_fma_f64 v[144:145], v[78:79], s[10:11], v[162:163]
	v_add_f64_e32 v[10:11], v[18:19], v[10:11]
	v_add_f64_e32 v[16:17], v[16:17], v[24:25]
	v_fma_f64 v[18:19], v[70:71], s[10:11], v[152:153]
	v_add_f64_e32 v[40:41], v[40:41], v[106:107]
	v_add_f64_e32 v[106:107], v[138:139], v[110:111]
	;; [unrolled: 1-line block ×3, first 2 shown]
	v_fma_f64 v[24:25], v[70:71], s[10:11], -v[152:153]
	v_add_f64_e32 v[112:113], v[202:203], v[180:181]
	v_fma_f64 v[152:153], v[70:71], s[12:13], v[156:157]
	v_add_f64_e32 v[36:37], v[62:63], v[36:37]
	v_add_f64_e32 v[62:63], v[64:65], v[72:73]
	;; [unrolled: 1-line block ×8, first 2 shown]
	v_fma_f64 v[156:157], v[70:71], s[0:1], v[68:69]
	v_fma_f64 v[68:69], v[70:71], s[0:1], -v[68:69]
	v_add_f64_e32 v[2:3], v[60:61], v[2:3]
	v_add_f64_e32 v[26:27], v[26:27], v[28:29]
	;; [unrolled: 1-line block ×4, first 2 shown]
	v_fma_f64 v[28:29], v[58:59], s[24:25], v[124:125]
	v_fma_f64 v[60:61], v[58:59], s[22:23], v[124:125]
	v_fma_f64 v[124:125], v[78:79], s[2:3], -v[158:159]
	v_fma_f64 v[142:143], v[78:79], s[12:13], -v[160:161]
	v_add_f64_e32 v[50:51], v[50:51], v[108:109]
	v_fma_f64 v[140:141], v[78:79], s[12:13], v[160:161]
	v_fma_f64 v[148:149], v[78:79], s[0:1], v[164:165]
	;; [unrolled: 1-line block ×3, first 2 shown]
	v_fma_f64 v[76:77], v[78:79], s[6:7], -v[76:77]
	v_fma_f64 v[70:71], v[56:57], s[22:23], v[114:115]
	v_fma_f64 v[114:115], v[56:57], s[24:25], v[114:115]
	;; [unrolled: 1-line block ×3, first 2 shown]
	v_add_f64_e32 v[10:11], v[10:11], v[22:23]
	v_add_f64_e32 v[16:17], v[16:17], v[20:21]
	v_fma_f64 v[20:21], v[58:59], s[30:31], v[122:123]
	v_fma_f64 v[22:23], v[58:59], s[28:29], v[122:123]
	;; [unrolled: 1-line block ×5, first 2 shown]
	v_fma_f64 v[158:159], v[78:79], s[0:1], -v[164:165]
	v_add_f64_e32 v[40:41], v[130:131], v[40:41]
	v_add_f64_e32 v[36:37], v[54:55], v[36:37]
	;; [unrolled: 1-line block ×19, first 2 shown]
	v_fma_f64 v[106:107], v[56:57], s[28:29], v[42:43]
	v_fma_f64 v[42:43], v[56:57], s[30:31], v[42:43]
	v_fma_f64 v[128:129], v[74:75], s[10:11], -v[172:173]
	v_fma_f64 v[48:49], v[56:57], s[14:15], v[118:119]
	v_fma_f64 v[68:69], v[56:57], s[20:21], v[118:119]
	v_fma_f64 v[110:111], v[74:75], s[2:3], -v[168:169]
	v_fma_f64 v[118:119], v[74:75], s[6:7], -v[170:171]
	v_add_f64_e32 v[50:51], v[146:147], v[50:51]
	v_fma_f64 v[56:57], v[56:57], s[18:19], v[32:33]
	v_fma_f64 v[32:33], v[74:75], s[2:3], v[168:169]
	;; [unrolled: 1-line block ×3, first 2 shown]
	v_add_f64_e32 v[10:11], v[10:11], v[12:13]
	v_add_f64_e32 v[12:13], v[16:17], v[14:15]
	v_fma_f64 v[14:15], v[74:75], s[0:1], v[166:167]
	v_fma_f64 v[16:17], v[74:75], s[0:1], -v[166:167]
	v_fma_f64 v[126:127], v[74:75], s[10:11], v[172:173]
	v_fma_f64 v[130:131], v[74:75], s[12:13], v[34:35]
	v_fma_f64 v[34:35], v[74:75], s[12:13], -v[34:35]
	v_add_f64_e32 v[22:23], v[22:23], v[40:41]
	v_add_f64_e32 v[36:37], v[210:211], v[36:37]
	;; [unrolled: 1-line block ×43, first 2 shown]
	v_lshrrev_b32_e32 v8, 2, v80
	s_delay_alu instid0(VALU_DEP_1) | instskip(NEXT) | instid1(VALU_DEP_1)
	v_mul_u32_u24_e32 v8, 44, v8
	v_or_b32_e32 v8, v8, v97
	s_delay_alu instid0(VALU_DEP_1)
	v_lshl_add_u32 v8, v8, 4, 0
	ds_store_b128 v8, v[26:29] offset:128
	ds_store_b128 v8, v[22:25] offset:192
	;; [unrolled: 1-line block ×9, first 2 shown]
	ds_store_b128 v8, v[44:47]
	ds_store_b128 v8, v[34:37] offset:640
.LBB0_17:
	s_or_b32 exec_lo, exec_lo, s33
	v_and_b32_e32 v0, 0xff, v80
	v_and_b32_e32 v2, 0xff, v82
	global_wb scope:SCOPE_SE
	s_wait_dscnt 0x0
	s_barrier_signal -1
	s_barrier_wait -1
	v_mul_lo_u16 v0, 0xbb, v0
	global_inv scope:SCOPE_SE
	v_add_nc_u32_e32 v10, v92, v95
	v_add_nc_u32_e32 v9, v93, v96
	;; [unrolled: 1-line block ×3, first 2 shown]
	v_lshrrev_b16 v1, 13, v0
	v_mul_lo_u16 v0, 0xbb, v2
	s_mov_b32 s2, 0x134454ff
	s_mov_b32 s3, 0x3fee6f0e
	s_mov_b32 s7, 0xbfee6f0e
	v_mul_lo_u16 v2, v1, 44
	v_lshrrev_b16 v0, 13, v0
	s_wait_alu 0xfffe
	s_mov_b32 s6, s2
	s_mov_b32 s10, 0x4755a5e
	;; [unrolled: 1-line block ×3, first 2 shown]
	v_sub_nc_u16 v2, v80, v2
	v_mul_lo_u16 v3, v0, 44
	s_mov_b32 s13, 0xbfe2cf23
	s_wait_alu 0xfffe
	s_mov_b32 s12, s10
	s_mov_b32 s14, 0x372fe950
	v_and_b32_e32 v2, 0xff, v2
	v_sub_nc_u16 v3, v82, v3
	s_mov_b32 s15, 0x3fd3c6ef
	v_and_b32_e32 v1, 0xffff, v1
	v_and_b32_e32 v0, 0xffff, v0
	v_lshlrev_b32_e32 v4, 6, v2
	v_and_b32_e32 v5, 0xff, v3
	v_lshlrev_b32_e32 v2, 4, v2
	v_mul_u32_u24_e32 v1, 0xdc0, v1
	v_mul_u32_u24_e32 v0, 0xdc0, v0
	s_clause 0x2
	global_load_b128 v[12:15], v4, s[4:5] offset:672
	global_load_b128 v[16:19], v4, s[4:5] offset:688
	;; [unrolled: 1-line block ×3, first 2 shown]
	v_lshlrev_b32_e32 v3, 6, v5
	s_mov_b32 s1, exec_lo
	v_add3_u32 v1, 0, v1, v2
	s_clause 0x4
	global_load_b128 v[24:27], v4, s[4:5] offset:720
	global_load_b128 v[28:31], v3, s[4:5] offset:672
	;; [unrolled: 1-line block ×5, first 2 shown]
	ds_load_b128 v[44:47], v10
	ds_load_b128 v[48:51], v9
	ds_load_b128 v[52:55], v90 offset:10560
	ds_load_b128 v[56:59], v90 offset:14080
	ds_load_b128 v[60:63], v90 offset:5280
	ds_load_b128 v[64:67], v90 offset:8800
	ds_load_b128 v[68:71], v90 offset:12320
	ds_load_b128 v[72:75], v90 offset:15840
	ds_load_b128 v[76:79], v11
	s_wait_loadcnt_dscnt 0x708
	v_mul_f64_e32 v[3:4], v[46:47], v[14:15]
	s_wait_loadcnt_dscnt 0x607
	v_mul_f64_e32 v[6:7], v[50:51], v[18:19]
	;; [unrolled: 2-line block ×3, first 2 shown]
	v_mul_f64_e32 v[18:19], v[48:49], v[18:19]
	v_mul_f64_e32 v[22:23], v[52:53], v[22:23]
	;; [unrolled: 1-line block ×3, first 2 shown]
	s_wait_loadcnt_dscnt 0x405
	v_mul_f64_e32 v[94:95], v[58:59], v[26:27]
	v_mul_f64_e32 v[26:27], v[56:57], v[26:27]
	s_wait_loadcnt_dscnt 0x203
	v_mul_f64_e32 v[98:99], v[66:67], v[34:35]
	s_wait_loadcnt_dscnt 0x102
	v_mul_f64_e32 v[100:101], v[70:71], v[38:39]
	v_mul_f64_e32 v[34:35], v[64:65], v[34:35]
	;; [unrolled: 1-line block ×5, first 2 shown]
	s_wait_loadcnt_dscnt 0x1
	v_mul_f64_e32 v[102:103], v[74:75], v[42:43]
	v_mul_f64_e32 v[42:43], v[72:73], v[42:43]
	v_fma_f64 v[3:4], v[44:45], v[12:13], -v[3:4]
	v_fma_f64 v[6:7], v[48:49], v[16:17], -v[6:7]
	;; [unrolled: 1-line block ×3, first 2 shown]
	v_fma_f64 v[16:17], v[50:51], v[16:17], v[18:19]
	v_fma_f64 v[18:19], v[54:55], v[20:21], v[22:23]
	;; [unrolled: 1-line block ×3, first 2 shown]
	ds_load_b128 v[12:15], v90
	v_fma_f64 v[48:49], v[56:57], v[24:25], -v[94:95]
	v_fma_f64 v[20:21], v[58:59], v[24:25], v[26:27]
	v_fma_f64 v[24:25], v[64:65], v[32:33], -v[98:99]
	v_fma_f64 v[26:27], v[68:69], v[36:37], -v[100:101]
	v_fma_f64 v[32:33], v[66:67], v[32:33], v[34:35]
	v_fma_f64 v[34:35], v[70:71], v[36:37], v[38:39]
	v_fma_f64 v[22:23], v[60:61], v[28:29], -v[96:97]
	v_fma_f64 v[28:29], v[62:63], v[28:29], v[30:31]
	v_fma_f64 v[30:31], v[72:73], v[40:41], -v[102:103]
	v_fma_f64 v[36:37], v[74:75], v[40:41], v[42:43]
	global_wb scope:SCOPE_SE
	s_wait_dscnt 0x0
	s_barrier_signal -1
	s_barrier_wait -1
	global_inv scope:SCOPE_SE
	v_add_f64_e32 v[60:61], v[12:13], v[3:4]
	v_add_f64_e32 v[38:39], v[6:7], v[44:45]
	;; [unrolled: 1-line block ×4, first 2 shown]
	v_add_f64_e64 v[64:65], v[16:17], -v[18:19]
	v_add_f64_e32 v[40:41], v[3:4], v[48:49]
	v_add_f64_e32 v[50:51], v[46:47], v[20:21]
	v_add_f64_e64 v[62:63], v[46:47], -v[20:21]
	v_add_f64_e32 v[52:53], v[24:25], v[26:27]
	v_add_f64_e64 v[72:73], v[3:4], -v[48:49]
	v_add_f64_e32 v[56:57], v[32:33], v[34:35]
	v_add_f64_e32 v[68:69], v[76:77], v[22:23]
	;; [unrolled: 1-line block ×5, first 2 shown]
	v_add_f64_e64 v[74:75], v[28:29], -v[36:37]
	v_add_f64_e64 v[92:93], v[22:23], -v[30:31]
	;; [unrolled: 1-line block ×16, first 2 shown]
	v_fma_f64 v[38:39], v[38:39], -0.5, v[12:13]
	v_fma_f64 v[42:43], v[42:43], -0.5, v[14:15]
	v_add_f64_e32 v[16:17], v[66:67], v[16:17]
	v_fma_f64 v[12:13], v[40:41], -0.5, v[12:13]
	v_add_f64_e64 v[40:41], v[6:7], -v[44:45]
	v_fma_f64 v[14:15], v[50:51], -0.5, v[14:15]
	v_fma_f64 v[52:53], v[52:53], -0.5, v[76:77]
	v_add_f64_e64 v[50:51], v[32:33], -v[34:35]
	v_fma_f64 v[56:57], v[56:57], -0.5, v[78:79]
	v_add_f64_e32 v[32:33], v[70:71], v[32:33]
	v_fma_f64 v[54:55], v[54:55], -0.5, v[76:77]
	v_add_f64_e64 v[76:77], v[24:25], -v[26:27]
	v_fma_f64 v[58:59], v[58:59], -0.5, v[78:79]
	v_add_f64_e64 v[78:79], v[3:4], -v[6:7]
	v_add_f64_e64 v[3:4], v[6:7], -v[3:4]
	v_add_f64_e32 v[6:7], v[60:61], v[6:7]
	v_add_f64_e32 v[24:25], v[68:69], v[24:25]
	;; [unrolled: 1-line block ×4, first 2 shown]
	v_fma_f64 v[60:61], v[62:63], s[2:3], v[38:39]
	v_fma_f64 v[38:39], v[62:63], s[6:7], v[38:39]
	;; [unrolled: 1-line block ×4, first 2 shown]
	v_add_f64_e32 v[16:17], v[16:17], v[18:19]
	v_fma_f64 v[66:67], v[64:65], s[6:7], v[12:13]
	v_fma_f64 v[12:13], v[64:65], s[2:3], v[12:13]
	;; [unrolled: 1-line block ×12, first 2 shown]
	v_add_f64_e32 v[78:79], v[78:79], v[94:95]
	v_add_f64_e32 v[6:7], v[6:7], v[44:45]
	;; [unrolled: 1-line block ×9, first 2 shown]
	v_fma_f64 v[24:25], v[64:65], s[10:11], v[60:61]
	s_wait_alu 0xfffe
	v_fma_f64 v[26:27], v[64:65], s[12:13], v[38:39]
	v_fma_f64 v[34:35], v[40:41], s[12:13], v[68:69]
	;; [unrolled: 1-line block ×15, first 2 shown]
	v_add_f64_e32 v[14:15], v[16:17], v[20:21]
	v_add_f64_e32 v[12:13], v[6:7], v[48:49]
	;; [unrolled: 1-line block ×4, first 2 shown]
	v_fma_f64 v[20:21], v[78:79], s[14:15], v[24:25]
	v_fma_f64 v[24:25], v[78:79], s[14:15], v[26:27]
	;; [unrolled: 1-line block ×16, first 2 shown]
	v_dual_mov_b32 v4, 0 :: v_dual_lshlrev_b32 v3, 2, v80
	s_delay_alu instid0(VALU_DEP_1) | instskip(SKIP_1) | instid1(VALU_DEP_1)
	v_lshlrev_b64_e32 v[6:7], 4, v[3:4]
	v_lshlrev_b32_e32 v3, 2, v82
	v_lshlrev_b64_e32 v[52:53], 4, v[3:4]
	s_delay_alu instid0(VALU_DEP_3) | instskip(SKIP_3) | instid1(VALU_DEP_2)
	v_add_co_u32 v54, s0, s4, v6
	v_lshlrev_b32_e32 v3, 4, v5
	s_wait_alu 0xf1ff
	v_add_co_ci_u32_e64 v55, s0, s5, v7, s0
	v_add3_u32 v0, 0, v0, v3
	ds_store_b128 v1, v[12:15]
	ds_store_b128 v1, v[20:23] offset:704
	ds_store_b128 v1, v[28:31] offset:1408
	;; [unrolled: 1-line block ×4, first 2 shown]
	ds_store_b128 v0, v[16:19]
	ds_store_b128 v0, v[36:39] offset:704
	ds_store_b128 v0, v[44:47] offset:1408
	;; [unrolled: 1-line block ×4, first 2 shown]
	v_add_co_u32 v32, s0, s4, v52
	global_wb scope:SCOPE_SE
	s_wait_dscnt 0x0
	s_barrier_signal -1
	s_barrier_wait -1
	global_inv scope:SCOPE_SE
	s_clause 0x2
	global_load_b128 v[0:3], v[54:55], off offset:3520
	global_load_b128 v[5:8], v[54:55], off offset:3504
	;; [unrolled: 1-line block ×3, first 2 shown]
	s_wait_alu 0xf1ff
	v_add_co_ci_u32_e64 v33, s0, s5, v53, s0
	s_clause 0x4
	global_load_b128 v[16:19], v[54:55], off offset:3536
	global_load_b128 v[20:23], v[32:33], off offset:3488
	;; [unrolled: 1-line block ×5, first 2 shown]
	ds_load_b128 v[36:39], v10
	ds_load_b128 v[40:43], v9
	ds_load_b128 v[44:47], v90 offset:10560
	ds_load_b128 v[48:51], v90 offset:14080
	;; [unrolled: 1-line block ×6, first 2 shown]
	ds_load_b128 v[68:71], v11
	s_wait_loadcnt_dscnt 0x706
	v_mul_f64_e32 v[76:77], v[46:47], v[2:3]
	s_wait_loadcnt 0x6
	v_mul_f64_e32 v[74:75], v[42:43], v[7:8]
	v_mul_f64_e32 v[7:8], v[40:41], v[7:8]
	v_mul_f64_e32 v[2:3], v[44:45], v[2:3]
	s_wait_loadcnt 0x5
	v_mul_f64_e32 v[72:73], v[38:39], v[14:15]
	v_mul_f64_e32 v[14:15], v[36:37], v[14:15]
	s_wait_loadcnt_dscnt 0x405
	v_mul_f64_e32 v[78:79], v[50:51], v[18:19]
	v_mul_f64_e32 v[18:19], v[48:49], v[18:19]
	s_wait_loadcnt_dscnt 0x304
	v_mul_f64_e32 v[92:93], v[54:55], v[22:23]
	s_wait_loadcnt_dscnt 0x203
	v_mul_f64_e32 v[94:95], v[58:59], v[26:27]
	s_wait_loadcnt_dscnt 0x102
	v_mul_f64_e32 v[96:97], v[62:63], v[30:31]
	v_mul_f64_e32 v[22:23], v[52:53], v[22:23]
	s_wait_loadcnt_dscnt 0x1
	v_mul_f64_e32 v[98:99], v[66:67], v[34:35]
	v_mul_f64_e32 v[26:27], v[56:57], v[26:27]
	;; [unrolled: 1-line block ×4, first 2 shown]
	v_fma_f64 v[44:45], v[44:45], v[0:1], -v[76:77]
	v_fma_f64 v[40:41], v[40:41], v[5:6], -v[74:75]
	v_fma_f64 v[5:6], v[42:43], v[5:6], v[7:8]
	v_fma_f64 v[7:8], v[46:47], v[0:1], v[2:3]
	v_fma_f64 v[36:37], v[36:37], v[12:13], -v[72:73]
	v_fma_f64 v[12:13], v[38:39], v[12:13], v[14:15]
	v_fma_f64 v[14:15], v[48:49], v[16:17], -v[78:79]
	;; [unrolled: 2-line block ×3, first 2 shown]
	v_fma_f64 v[38:39], v[56:57], v[24:25], -v[94:95]
	v_fma_f64 v[42:43], v[60:61], v[28:29], -v[96:97]
	v_fma_f64 v[20:21], v[54:55], v[20:21], v[22:23]
	v_fma_f64 v[22:23], v[64:65], v[32:33], -v[98:99]
	v_fma_f64 v[24:25], v[58:59], v[24:25], v[26:27]
	v_fma_f64 v[26:27], v[62:63], v[28:29], v[30:31]
	;; [unrolled: 1-line block ×3, first 2 shown]
	ds_load_b128 v[0:3], v90
	global_wb scope:SCOPE_SE
	s_wait_dscnt 0x0
	s_barrier_signal -1
	s_barrier_wait -1
	global_inv scope:SCOPE_SE
	v_add_f64_e32 v[30:31], v[40:41], v[44:45]
	v_add_f64_e32 v[34:35], v[5:6], v[7:8]
	;; [unrolled: 1-line block ×6, first 2 shown]
	v_add_f64_e64 v[58:59], v[12:13], -v[16:17]
	v_add_f64_e32 v[64:65], v[68:69], v[18:19]
	v_add_f64_e32 v[48:49], v[38:39], v[42:43]
	v_add_f64_e64 v[72:73], v[36:37], -v[14:15]
	v_add_f64_e32 v[50:51], v[18:19], v[22:23]
	v_add_f64_e64 v[60:61], v[5:6], -v[7:8]
	v_add_f64_e32 v[52:53], v[24:25], v[26:27]
	v_add_f64_e32 v[54:55], v[20:21], v[28:29]
	;; [unrolled: 1-line block ×3, first 2 shown]
	v_add_f64_e64 v[74:75], v[20:21], -v[28:29]
	v_add_f64_e64 v[76:77], v[18:19], -v[22:23]
	;; [unrolled: 1-line block ×16, first 2 shown]
	v_fma_f64 v[30:31], v[30:31], -0.5, v[0:1]
	v_fma_f64 v[34:35], v[34:35], -0.5, v[2:3]
	v_add_f64_e32 v[5:6], v[62:63], v[5:6]
	v_fma_f64 v[0:1], v[32:33], -0.5, v[0:1]
	v_add_f64_e64 v[32:33], v[40:41], -v[44:45]
	v_fma_f64 v[2:3], v[46:47], -0.5, v[2:3]
	v_add_f64_e64 v[46:47], v[24:25], -v[26:27]
	v_fma_f64 v[48:49], v[48:49], -0.5, v[68:69]
	v_fma_f64 v[50:51], v[50:51], -0.5, v[68:69]
	v_add_f64_e64 v[68:69], v[38:39], -v[42:43]
	v_fma_f64 v[52:53], v[52:53], -0.5, v[70:71]
	v_fma_f64 v[54:55], v[54:55], -0.5, v[70:71]
	v_add_f64_e64 v[70:71], v[36:37], -v[40:41]
	v_add_f64_e64 v[36:37], v[40:41], -v[36:37]
	v_add_f64_e32 v[40:41], v[56:57], v[40:41]
	v_add_f64_e32 v[38:39], v[64:65], v[38:39]
	;; [unrolled: 1-line block ×3, first 2 shown]
	v_fma_f64 v[56:57], v[58:59], s[2:3], v[30:31]
	v_fma_f64 v[30:31], v[58:59], s[6:7], v[30:31]
	;; [unrolled: 1-line block ×4, first 2 shown]
	v_add_f64_e32 v[5:6], v[5:6], v[7:8]
	v_fma_f64 v[62:63], v[60:61], s[6:7], v[0:1]
	v_fma_f64 v[0:1], v[60:61], s[2:3], v[0:1]
	;; [unrolled: 1-line block ×12, first 2 shown]
	v_add_f64_e32 v[36:37], v[36:37], v[92:93]
	v_add_f64_e32 v[92:93], v[12:13], v[98:99]
	;; [unrolled: 1-line block ×11, first 2 shown]
	v_fma_f64 v[20:21], v[60:61], s[10:11], v[56:57]
	v_fma_f64 v[24:25], v[60:61], s[12:13], v[30:31]
	;; [unrolled: 1-line block ×16, first 2 shown]
	v_add_f64_e32 v[2:3], v[5:6], v[16:17]
	v_add_f64_e32 v[0:1], v[12:13], v[14:15]
	;; [unrolled: 1-line block ×4, first 2 shown]
	v_fma_f64 v[12:13], v[70:71], s[14:15], v[20:21]
	v_fma_f64 v[16:17], v[70:71], s[14:15], v[24:25]
	;; [unrolled: 1-line block ×16, first 2 shown]
	ds_store_b128 v90, v[0:3]
	ds_store_b128 v90, v[12:15] offset:3520
	ds_store_b128 v90, v[20:23] offset:7040
	;; [unrolled: 1-line block ×4, first 2 shown]
	ds_store_b128 v11, v[5:8]
	ds_store_b128 v11, v[28:31] offset:3520
	ds_store_b128 v11, v[36:39] offset:7040
	;; [unrolled: 1-line block ×4, first 2 shown]
	global_wb scope:SCOPE_SE
	s_wait_dscnt 0x0
	s_barrier_signal -1
	s_barrier_wait -1
	global_inv scope:SCOPE_SE
	ds_load_b128 v[0:3], v90
	v_sub_nc_u32_e32 v12, 0, v81
                                        ; implicit-def: $vgpr7_vgpr8
                                        ; implicit-def: $vgpr5_vgpr6
	v_cmpx_ne_u32_e32 0, v80
	s_xor_b32 s1, exec_lo, s1
	s_cbranch_execz .LBB0_19
; %bb.18:
	v_mov_b32_e32 v81, v4
	s_delay_alu instid0(VALU_DEP_1) | instskip(NEXT) | instid1(VALU_DEP_1)
	v_lshlrev_b64_e32 v[4:5], 4, v[80:81]
	v_add_co_u32 v4, s0, s4, v4
	s_wait_alu 0xf1ff
	s_delay_alu instid0(VALU_DEP_2)
	v_add_co_ci_u32_e64 v5, s0, s5, v5, s0
	global_load_b128 v[13:16], v[4:5], off offset:17568
	ds_load_b128 v[4:7], v12 offset:17600
	s_wait_dscnt 0x0
	v_add_f64_e64 v[17:18], v[0:1], -v[4:5]
	v_add_f64_e32 v[19:20], v[2:3], v[6:7]
	v_add_f64_e64 v[2:3], v[2:3], -v[6:7]
	v_add_f64_e32 v[0:1], v[0:1], v[4:5]
	s_delay_alu instid0(VALU_DEP_4) | instskip(NEXT) | instid1(VALU_DEP_4)
	v_mul_f64_e32 v[6:7], 0.5, v[17:18]
	v_mul_f64_e32 v[17:18], 0.5, v[19:20]
	s_delay_alu instid0(VALU_DEP_4) | instskip(SKIP_1) | instid1(VALU_DEP_3)
	v_mul_f64_e32 v[2:3], 0.5, v[2:3]
	s_wait_loadcnt 0x0
	v_mul_f64_e32 v[4:5], v[6:7], v[15:16]
	s_delay_alu instid0(VALU_DEP_2) | instskip(SKIP_1) | instid1(VALU_DEP_3)
	v_fma_f64 v[19:20], v[17:18], v[15:16], v[2:3]
	v_fma_f64 v[2:3], v[17:18], v[15:16], -v[2:3]
	v_fma_f64 v[15:16], v[0:1], 0.5, v[4:5]
	v_fma_f64 v[0:1], v[0:1], 0.5, -v[4:5]
	s_delay_alu instid0(VALU_DEP_4) | instskip(NEXT) | instid1(VALU_DEP_4)
	v_fma_f64 v[19:20], -v[13:14], v[6:7], v[19:20]
	v_fma_f64 v[2:3], -v[13:14], v[6:7], v[2:3]
	ds_store_b64 v90, v[19:20] offset:8
	ds_store_b64 v12, v[2:3] offset:17608
	v_fma_f64 v[5:6], v[17:18], v[13:14], v[15:16]
	v_fma_f64 v[7:8], -v[17:18], v[13:14], v[0:1]
                                        ; implicit-def: $vgpr0_vgpr1
.LBB0_19:
	s_wait_alu 0xfffe
	s_or_saveexec_b32 s0, s1
	v_sub_nc_u32_e32 v4, 0, v83
	s_wait_alu 0xfffe
	s_xor_b32 exec_lo, exec_lo, s0
	s_cbranch_execz .LBB0_21
; %bb.20:
	s_wait_dscnt 0x0
	v_add_f64_e32 v[5:6], v[0:1], v[2:3]
	v_add_f64_e64 v[7:8], v[0:1], -v[2:3]
	s_mov_b32 s2, 0
	v_mov_b32_e32 v2, 0
	s_wait_alu 0xfffe
	s_mov_b32 s3, s2
	s_wait_alu 0xfffe
	v_dual_mov_b32 v0, s2 :: v_dual_mov_b32 v1, s3
	ds_store_b64 v90, v[0:1] offset:8
	ds_store_b64 v12, v[0:1] offset:17608
	ds_load_b64 v[0:1], v2 offset:8808
	s_wait_dscnt 0x0
	v_xor_b32_e32 v1, 0x80000000, v1
	ds_store_b64 v2, v[0:1] offset:8808
.LBB0_21:
	s_or_b32 exec_lo, exec_lo, s0
	v_dual_mov_b32 v83, 0 :: v_dual_add_nc_u32 v4, v91, v4
	s_wait_dscnt 0x0
	s_delay_alu instid0(VALU_DEP_1) | instskip(SKIP_1) | instid1(VALU_DEP_1)
	v_lshlrev_b64_e32 v[0:1], 4, v[82:83]
	v_mov_b32_e32 v89, v83
	v_lshlrev_b64_e32 v[13:14], 4, v[88:89]
	v_mov_b32_e32 v88, v83
	s_delay_alu instid0(VALU_DEP_4) | instskip(SKIP_2) | instid1(VALU_DEP_4)
	v_add_co_u32 v0, s0, s4, v0
	s_wait_alu 0xf1ff
	v_add_co_ci_u32_e64 v1, s0, s5, v1, s0
	v_add_co_u32 v13, s0, s4, v13
	s_wait_alu 0xf1ff
	v_add_co_ci_u32_e64 v14, s0, s5, v14, s0
	s_clause 0x1
	global_load_b128 v[0:3], v[0:1], off offset:17568
	global_load_b128 v[13:16], v[13:14], off offset:17568
	ds_store_b64 v90, v[5:6]
	ds_store_b64 v12, v[7:8] offset:17600
	ds_load_b128 v[5:8], v11
	ds_load_b128 v[17:20], v12 offset:15840
	s_wait_dscnt 0x0
	v_add_f64_e64 v[21:22], v[5:6], -v[17:18]
	v_add_f64_e32 v[23:24], v[7:8], v[19:20]
	v_add_f64_e64 v[7:8], v[7:8], -v[19:20]
	v_add_f64_e32 v[5:6], v[5:6], v[17:18]
	s_delay_alu instid0(VALU_DEP_4) | instskip(NEXT) | instid1(VALU_DEP_4)
	v_mul_f64_e32 v[19:20], 0.5, v[21:22]
	v_mul_f64_e32 v[21:22], 0.5, v[23:24]
	s_delay_alu instid0(VALU_DEP_4) | instskip(SKIP_1) | instid1(VALU_DEP_3)
	v_mul_f64_e32 v[7:8], 0.5, v[7:8]
	s_wait_loadcnt 0x1
	v_mul_f64_e32 v[17:18], v[19:20], v[2:3]
	s_delay_alu instid0(VALU_DEP_2) | instskip(SKIP_1) | instid1(VALU_DEP_3)
	v_fma_f64 v[23:24], v[21:22], v[2:3], v[7:8]
	v_fma_f64 v[2:3], v[21:22], v[2:3], -v[7:8]
	v_fma_f64 v[7:8], v[5:6], 0.5, v[17:18]
	v_fma_f64 v[5:6], v[5:6], 0.5, -v[17:18]
	s_delay_alu instid0(VALU_DEP_4) | instskip(NEXT) | instid1(VALU_DEP_4)
	v_fma_f64 v[17:18], -v[0:1], v[19:20], v[23:24]
	v_fma_f64 v[19:20], -v[0:1], v[19:20], v[2:3]
	s_delay_alu instid0(VALU_DEP_4) | instskip(NEXT) | instid1(VALU_DEP_4)
	v_fma_f64 v[7:8], v[21:22], v[0:1], v[7:8]
	v_fma_f64 v[5:6], -v[21:22], v[0:1], v[5:6]
	v_lshlrev_b64_e32 v[0:1], 4, v[87:88]
	v_mov_b32_e32 v87, v83
	s_delay_alu instid0(VALU_DEP_2) | instskip(SKIP_1) | instid1(VALU_DEP_3)
	v_add_co_u32 v0, s0, s4, v0
	s_wait_alu 0xf1ff
	v_add_co_ci_u32_e64 v1, s0, s5, v1, s0
	global_load_b128 v[0:3], v[0:1], off offset:17568
	ds_store_b64 v11, v[17:18] offset:8
	ds_store_b64 v12, v[19:20] offset:15848
	ds_store_b64 v11, v[7:8]
	ds_store_b64 v12, v[5:6] offset:15840
	ds_load_b128 v[5:8], v10
	ds_load_b128 v[17:20], v12 offset:14080
	s_wait_dscnt 0x0
	v_add_f64_e64 v[21:22], v[5:6], -v[17:18]
	v_add_f64_e32 v[23:24], v[7:8], v[19:20]
	v_add_f64_e64 v[7:8], v[7:8], -v[19:20]
	v_add_f64_e32 v[5:6], v[5:6], v[17:18]
	s_delay_alu instid0(VALU_DEP_4) | instskip(NEXT) | instid1(VALU_DEP_4)
	v_mul_f64_e32 v[19:20], 0.5, v[21:22]
	v_mul_f64_e32 v[21:22], 0.5, v[23:24]
	s_delay_alu instid0(VALU_DEP_4) | instskip(SKIP_1) | instid1(VALU_DEP_3)
	v_mul_f64_e32 v[7:8], 0.5, v[7:8]
	s_wait_loadcnt 0x1
	v_mul_f64_e32 v[17:18], v[19:20], v[15:16]
	s_delay_alu instid0(VALU_DEP_2) | instskip(SKIP_1) | instid1(VALU_DEP_3)
	v_fma_f64 v[23:24], v[21:22], v[15:16], v[7:8]
	v_fma_f64 v[7:8], v[21:22], v[15:16], -v[7:8]
	v_fma_f64 v[15:16], v[5:6], 0.5, v[17:18]
	v_fma_f64 v[5:6], v[5:6], 0.5, -v[17:18]
	s_delay_alu instid0(VALU_DEP_4) | instskip(NEXT) | instid1(VALU_DEP_4)
	v_fma_f64 v[17:18], -v[13:14], v[19:20], v[23:24]
	v_fma_f64 v[19:20], -v[13:14], v[19:20], v[7:8]
	s_delay_alu instid0(VALU_DEP_4) | instskip(NEXT) | instid1(VALU_DEP_4)
	v_fma_f64 v[15:16], v[21:22], v[13:14], v[15:16]
	v_fma_f64 v[13:14], -v[21:22], v[13:14], v[5:6]
	v_lshlrev_b64_e32 v[5:6], 4, v[86:87]
	s_delay_alu instid0(VALU_DEP_1) | instskip(SKIP_1) | instid1(VALU_DEP_2)
	v_add_co_u32 v5, s0, s4, v5
	s_wait_alu 0xf1ff
	v_add_co_ci_u32_e64 v6, s0, s5, v6, s0
	global_load_b128 v[5:8], v[5:6], off offset:17568
	ds_store_b64 v10, v[17:18] offset:8
	ds_store_b64 v12, v[19:20] offset:14088
	ds_store_b64 v10, v[15:16]
	ds_store_b64 v12, v[13:14] offset:14080
	ds_load_b128 v[13:16], v4
	ds_load_b128 v[17:20], v12 offset:12320
	s_wait_dscnt 0x0
	v_add_f64_e64 v[10:11], v[13:14], -v[17:18]
	v_add_f64_e32 v[21:22], v[15:16], v[19:20]
	v_add_f64_e64 v[15:16], v[15:16], -v[19:20]
	v_add_f64_e32 v[13:14], v[13:14], v[17:18]
	s_delay_alu instid0(VALU_DEP_4) | instskip(NEXT) | instid1(VALU_DEP_4)
	v_mul_f64_e32 v[10:11], 0.5, v[10:11]
	v_mul_f64_e32 v[19:20], 0.5, v[21:22]
	s_delay_alu instid0(VALU_DEP_4) | instskip(SKIP_1) | instid1(VALU_DEP_3)
	v_mul_f64_e32 v[15:16], 0.5, v[15:16]
	s_wait_loadcnt 0x1
	v_mul_f64_e32 v[17:18], v[10:11], v[2:3]
	s_delay_alu instid0(VALU_DEP_2) | instskip(SKIP_1) | instid1(VALU_DEP_3)
	v_fma_f64 v[21:22], v[19:20], v[2:3], v[15:16]
	v_fma_f64 v[2:3], v[19:20], v[2:3], -v[15:16]
	v_fma_f64 v[15:16], v[13:14], 0.5, v[17:18]
	v_fma_f64 v[13:14], v[13:14], 0.5, -v[17:18]
	s_delay_alu instid0(VALU_DEP_4) | instskip(NEXT) | instid1(VALU_DEP_4)
	v_fma_f64 v[17:18], -v[0:1], v[10:11], v[21:22]
	v_fma_f64 v[2:3], -v[0:1], v[10:11], v[2:3]
	s_delay_alu instid0(VALU_DEP_4) | instskip(NEXT) | instid1(VALU_DEP_4)
	v_fma_f64 v[10:11], v[19:20], v[0:1], v[15:16]
	v_fma_f64 v[0:1], -v[19:20], v[0:1], v[13:14]
	ds_store_b64 v4, v[17:18] offset:8
	ds_store_b64 v12, v[2:3] offset:12328
	ds_store_b64 v4, v[10:11]
	ds_store_b64 v12, v[0:1] offset:12320
	ds_load_b128 v[0:3], v9
	ds_load_b128 v[13:16], v12 offset:10560
	s_wait_dscnt 0x0
	v_add_f64_e64 v[10:11], v[0:1], -v[13:14]
	v_add_f64_e32 v[17:18], v[2:3], v[15:16]
	v_add_f64_e64 v[2:3], v[2:3], -v[15:16]
	v_add_f64_e32 v[0:1], v[0:1], v[13:14]
	s_delay_alu instid0(VALU_DEP_4) | instskip(NEXT) | instid1(VALU_DEP_4)
	v_mul_f64_e32 v[10:11], 0.5, v[10:11]
	v_mul_f64_e32 v[15:16], 0.5, v[17:18]
	s_delay_alu instid0(VALU_DEP_4) | instskip(SKIP_1) | instid1(VALU_DEP_3)
	v_mul_f64_e32 v[2:3], 0.5, v[2:3]
	s_wait_loadcnt 0x0
	v_mul_f64_e32 v[13:14], v[10:11], v[7:8]
	s_delay_alu instid0(VALU_DEP_2) | instskip(SKIP_1) | instid1(VALU_DEP_3)
	v_fma_f64 v[17:18], v[15:16], v[7:8], v[2:3]
	v_fma_f64 v[2:3], v[15:16], v[7:8], -v[2:3]
	v_fma_f64 v[7:8], v[0:1], 0.5, v[13:14]
	v_fma_f64 v[0:1], v[0:1], 0.5, -v[13:14]
	s_delay_alu instid0(VALU_DEP_4) | instskip(NEXT) | instid1(VALU_DEP_4)
	v_fma_f64 v[13:14], -v[5:6], v[10:11], v[17:18]
	v_fma_f64 v[2:3], -v[5:6], v[10:11], v[2:3]
	s_delay_alu instid0(VALU_DEP_4) | instskip(NEXT) | instid1(VALU_DEP_4)
	v_fma_f64 v[7:8], v[15:16], v[5:6], v[7:8]
	v_fma_f64 v[0:1], -v[15:16], v[5:6], v[0:1]
	ds_store_b64 v9, v[13:14] offset:8
	ds_store_b64 v12, v[2:3] offset:10568
	ds_store_b64 v9, v[7:8]
	ds_store_b64 v12, v[0:1] offset:10560
	global_wb scope:SCOPE_SE
	s_wait_dscnt 0x0
	s_barrier_signal -1
	s_barrier_wait -1
	global_inv scope:SCOPE_SE
	s_and_saveexec_b32 s0, vcc_lo
	s_cbranch_execz .LBB0_24
; %bb.22:
	ds_load_b128 v[2:5], v90
	ds_load_b128 v[6:9], v90 offset:1760
	ds_load_b128 v[10:13], v90 offset:3520
	;; [unrolled: 1-line block ×9, first 2 shown]
	v_mov_b32_e32 v81, v83
	v_add_co_u32 v0, vcc_lo, s8, v84
	s_wait_alu 0xfffd
	v_add_co_ci_u32_e32 v1, vcc_lo, s9, v85, vcc_lo
	s_delay_alu instid0(VALU_DEP_3) | instskip(NEXT) | instid1(VALU_DEP_1)
	v_lshlrev_b64_e32 v[42:43], 4, v[80:81]
	v_add_co_u32 v42, vcc_lo, v0, v42
	s_wait_alu 0xfffd
	s_delay_alu instid0(VALU_DEP_2)
	v_add_co_ci_u32_e32 v43, vcc_lo, v1, v43, vcc_lo
	v_cmp_eq_u32_e32 vcc_lo, 0x6d, v80
	s_wait_dscnt 0x9
	global_store_b128 v[42:43], v[2:5], off
	s_wait_dscnt 0x8
	global_store_b128 v[42:43], v[6:9], off offset:1760
	s_wait_dscnt 0x7
	global_store_b128 v[42:43], v[10:13], off offset:3520
	;; [unrolled: 2-line block ×9, first 2 shown]
	s_and_b32 exec_lo, exec_lo, vcc_lo
	s_cbranch_execz .LBB0_24
; %bb.23:
	v_mov_b32_e32 v2, 0
	ds_load_b128 v[2:5], v2 offset:17600
	s_wait_dscnt 0x0
	global_store_b128 v[0:1], v[2:5], off offset:17600
.LBB0_24:
	s_nop 0
	s_sendmsg sendmsg(MSG_DEALLOC_VGPRS)
	s_endpgm
	.section	.rodata,"a",@progbits
	.p2align	6, 0x0
	.amdhsa_kernel fft_rtc_fwd_len1100_factors_2_2_11_5_5_wgs_110_tpt_110_dp_ip_CI_unitstride_sbrr_R2C_dirReg
		.amdhsa_group_segment_fixed_size 0
		.amdhsa_private_segment_fixed_size 0
		.amdhsa_kernarg_size 88
		.amdhsa_user_sgpr_count 2
		.amdhsa_user_sgpr_dispatch_ptr 0
		.amdhsa_user_sgpr_queue_ptr 0
		.amdhsa_user_sgpr_kernarg_segment_ptr 1
		.amdhsa_user_sgpr_dispatch_id 0
		.amdhsa_user_sgpr_private_segment_size 0
		.amdhsa_wavefront_size32 1
		.amdhsa_uses_dynamic_stack 0
		.amdhsa_enable_private_segment 0
		.amdhsa_system_sgpr_workgroup_id_x 1
		.amdhsa_system_sgpr_workgroup_id_y 0
		.amdhsa_system_sgpr_workgroup_id_z 0
		.amdhsa_system_sgpr_workgroup_info 0
		.amdhsa_system_vgpr_workitem_id 0
		.amdhsa_next_free_vgpr 214
		.amdhsa_next_free_sgpr 36
		.amdhsa_reserve_vcc 1
		.amdhsa_float_round_mode_32 0
		.amdhsa_float_round_mode_16_64 0
		.amdhsa_float_denorm_mode_32 3
		.amdhsa_float_denorm_mode_16_64 3
		.amdhsa_fp16_overflow 0
		.amdhsa_workgroup_processor_mode 1
		.amdhsa_memory_ordered 1
		.amdhsa_forward_progress 0
		.amdhsa_round_robin_scheduling 0
		.amdhsa_exception_fp_ieee_invalid_op 0
		.amdhsa_exception_fp_denorm_src 0
		.amdhsa_exception_fp_ieee_div_zero 0
		.amdhsa_exception_fp_ieee_overflow 0
		.amdhsa_exception_fp_ieee_underflow 0
		.amdhsa_exception_fp_ieee_inexact 0
		.amdhsa_exception_int_div_zero 0
	.end_amdhsa_kernel
	.text
.Lfunc_end0:
	.size	fft_rtc_fwd_len1100_factors_2_2_11_5_5_wgs_110_tpt_110_dp_ip_CI_unitstride_sbrr_R2C_dirReg, .Lfunc_end0-fft_rtc_fwd_len1100_factors_2_2_11_5_5_wgs_110_tpt_110_dp_ip_CI_unitstride_sbrr_R2C_dirReg
                                        ; -- End function
	.section	.AMDGPU.csdata,"",@progbits
; Kernel info:
; codeLenInByte = 10072
; NumSgprs: 38
; NumVgprs: 214
; ScratchSize: 0
; MemoryBound: 0
; FloatMode: 240
; IeeeMode: 1
; LDSByteSize: 0 bytes/workgroup (compile time only)
; SGPRBlocks: 4
; VGPRBlocks: 26
; NumSGPRsForWavesPerEU: 38
; NumVGPRsForWavesPerEU: 214
; Occupancy: 7
; WaveLimiterHint : 1
; COMPUTE_PGM_RSRC2:SCRATCH_EN: 0
; COMPUTE_PGM_RSRC2:USER_SGPR: 2
; COMPUTE_PGM_RSRC2:TRAP_HANDLER: 0
; COMPUTE_PGM_RSRC2:TGID_X_EN: 1
; COMPUTE_PGM_RSRC2:TGID_Y_EN: 0
; COMPUTE_PGM_RSRC2:TGID_Z_EN: 0
; COMPUTE_PGM_RSRC2:TIDIG_COMP_CNT: 0
	.text
	.p2alignl 7, 3214868480
	.fill 96, 4, 3214868480
	.type	__hip_cuid_d40ad11e0805a44,@object ; @__hip_cuid_d40ad11e0805a44
	.section	.bss,"aw",@nobits
	.globl	__hip_cuid_d40ad11e0805a44
__hip_cuid_d40ad11e0805a44:
	.byte	0                               ; 0x0
	.size	__hip_cuid_d40ad11e0805a44, 1

	.ident	"AMD clang version 19.0.0git (https://github.com/RadeonOpenCompute/llvm-project roc-6.4.0 25133 c7fe45cf4b819c5991fe208aaa96edf142730f1d)"
	.section	".note.GNU-stack","",@progbits
	.addrsig
	.addrsig_sym __hip_cuid_d40ad11e0805a44
	.amdgpu_metadata
---
amdhsa.kernels:
  - .args:
      - .actual_access:  read_only
        .address_space:  global
        .offset:         0
        .size:           8
        .value_kind:     global_buffer
      - .offset:         8
        .size:           8
        .value_kind:     by_value
      - .actual_access:  read_only
        .address_space:  global
        .offset:         16
        .size:           8
        .value_kind:     global_buffer
      - .actual_access:  read_only
        .address_space:  global
        .offset:         24
        .size:           8
        .value_kind:     global_buffer
      - .offset:         32
        .size:           8
        .value_kind:     by_value
      - .actual_access:  read_only
        .address_space:  global
        .offset:         40
        .size:           8
        .value_kind:     global_buffer
      - .actual_access:  read_only
        .address_space:  global
        .offset:         48
        .size:           8
        .value_kind:     global_buffer
      - .offset:         56
        .size:           4
        .value_kind:     by_value
      - .actual_access:  read_only
        .address_space:  global
        .offset:         64
        .size:           8
        .value_kind:     global_buffer
      - .actual_access:  read_only
        .address_space:  global
        .offset:         72
        .size:           8
        .value_kind:     global_buffer
      - .address_space:  global
        .offset:         80
        .size:           8
        .value_kind:     global_buffer
    .group_segment_fixed_size: 0
    .kernarg_segment_align: 8
    .kernarg_segment_size: 88
    .language:       OpenCL C
    .language_version:
      - 2
      - 0
    .max_flat_workgroup_size: 110
    .name:           fft_rtc_fwd_len1100_factors_2_2_11_5_5_wgs_110_tpt_110_dp_ip_CI_unitstride_sbrr_R2C_dirReg
    .private_segment_fixed_size: 0
    .sgpr_count:     38
    .sgpr_spill_count: 0
    .symbol:         fft_rtc_fwd_len1100_factors_2_2_11_5_5_wgs_110_tpt_110_dp_ip_CI_unitstride_sbrr_R2C_dirReg.kd
    .uniform_work_group_size: 1
    .uses_dynamic_stack: false
    .vgpr_count:     214
    .vgpr_spill_count: 0
    .wavefront_size: 32
    .workgroup_processor_mode: 1
amdhsa.target:   amdgcn-amd-amdhsa--gfx1201
amdhsa.version:
  - 1
  - 2
...

	.end_amdgpu_metadata
